;; amdgpu-corpus repo=ROCm/aiter kind=compiled arch=gfx1030 opt=O3
	.amdgcn_target "amdgcn-amd-amdhsa--gfx1030"
	.amdhsa_code_object_version 6
	.text
	.protected	_Z25cumulative_barrier_kernelPjPii ; -- Begin function _Z25cumulative_barrier_kernelPjPii
	.globl	_Z25cumulative_barrier_kernelPjPii
	.p2align	8
	.type	_Z25cumulative_barrier_kernelPjPii,@function
_Z25cumulative_barrier_kernelPjPii:     ; @_Z25cumulative_barrier_kernelPjPii
; %bb.0:
	s_load_dword s0, s[4:5], 0x10
	s_waitcnt lgkmcnt(0)
	s_cmp_ge_i32 s6, s0
	s_cbranch_scc1 .LBB0_10
; %bb.1:
	s_load_dwordx4 s[8:11], s[4:5], 0x0
	v_cmp_eq_u32_e64 s0, 0, v0
	s_and_saveexec_b32 s1, s0
	s_cbranch_execz .LBB0_4
; %bb.2:
	v_mov_b32_e32 v0, 0
.LBB0_3:                                ; =>This Inner Loop Header: Depth=1
	s_waitcnt lgkmcnt(0)
	global_load_dword v1, v0, s[8:9] glc dlc
	s_waitcnt vmcnt(0)
	v_cmp_gt_u32_e32 vcc_lo, s6, v1
	s_cbranch_vccnz .LBB0_3
.LBB0_4:
	s_or_b32 exec_lo, exec_lo, s1
	s_barrier
	s_and_saveexec_b32 s1, s0
	s_cbranch_execz .LBB0_7
; %bb.5:
	s_mov_b32 s2, exec_lo
	v_mbcnt_lo_u32_b32 v0, s2, 0
	v_cmp_eq_u32_e32 vcc_lo, 0, v0
	s_and_b32 s3, exec_lo, vcc_lo
	s_mov_b32 exec_lo, s3
	s_cbranch_execz .LBB0_7
; %bb.6:
	s_add_i32 s3, s6, 1
	s_bcnt1_i32_b32 s2, s2
	v_mov_b32_e32 v0, 0
	s_mul_i32 s2, s3, s2
	v_mov_b32_e32 v1, s2
	s_waitcnt lgkmcnt(0)
	global_atomic_add v0, v1, s[10:11]
.LBB0_7:
	s_or_b32 exec_lo, exec_lo, s1
	s_barrier
	s_and_saveexec_b32 s1, s0
	s_cbranch_execz .LBB0_10
; %bb.8:
	s_mov_b32 s0, exec_lo
	v_mbcnt_lo_u32_b32 v0, s0, 0
	v_cmp_eq_u32_e32 vcc_lo, 0, v0
	s_and_b32 s1, exec_lo, vcc_lo
	s_mov_b32 exec_lo, s1
	s_cbranch_execz .LBB0_10
; %bb.9:
	s_bcnt1_i32_b32 s0, s0
	v_mov_b32_e32 v0, 0
	v_mov_b32_e32 v1, s0
	s_waitcnt lgkmcnt(0)
	global_atomic_add v0, v1, s[8:9]
.LBB0_10:
	s_endpgm
	.section	.rodata,"a",@progbits
	.p2align	6, 0x0
	.amdhsa_kernel _Z25cumulative_barrier_kernelPjPii
		.amdhsa_group_segment_fixed_size 0
		.amdhsa_private_segment_fixed_size 0
		.amdhsa_kernarg_size 20
		.amdhsa_user_sgpr_count 6
		.amdhsa_user_sgpr_private_segment_buffer 1
		.amdhsa_user_sgpr_dispatch_ptr 0
		.amdhsa_user_sgpr_queue_ptr 0
		.amdhsa_user_sgpr_kernarg_segment_ptr 1
		.amdhsa_user_sgpr_dispatch_id 0
		.amdhsa_user_sgpr_flat_scratch_init 0
		.amdhsa_user_sgpr_private_segment_size 0
		.amdhsa_wavefront_size32 1
		.amdhsa_uses_dynamic_stack 0
		.amdhsa_system_sgpr_private_segment_wavefront_offset 0
		.amdhsa_system_sgpr_workgroup_id_x 1
		.amdhsa_system_sgpr_workgroup_id_y 0
		.amdhsa_system_sgpr_workgroup_id_z 0
		.amdhsa_system_sgpr_workgroup_info 0
		.amdhsa_system_vgpr_workitem_id 0
		.amdhsa_next_free_vgpr 2
		.amdhsa_next_free_sgpr 12
		.amdhsa_reserve_vcc 1
		.amdhsa_reserve_flat_scratch 0
		.amdhsa_float_round_mode_32 0
		.amdhsa_float_round_mode_16_64 0
		.amdhsa_float_denorm_mode_32 3
		.amdhsa_float_denorm_mode_16_64 3
		.amdhsa_dx10_clamp 1
		.amdhsa_ieee_mode 1
		.amdhsa_fp16_overflow 0
		.amdhsa_workgroup_processor_mode 1
		.amdhsa_memory_ordered 1
		.amdhsa_forward_progress 1
		.amdhsa_shared_vgpr_count 0
		.amdhsa_exception_fp_ieee_invalid_op 0
		.amdhsa_exception_fp_denorm_src 0
		.amdhsa_exception_fp_ieee_div_zero 0
		.amdhsa_exception_fp_ieee_overflow 0
		.amdhsa_exception_fp_ieee_underflow 0
		.amdhsa_exception_fp_ieee_inexact 0
		.amdhsa_exception_int_div_zero 0
	.end_amdhsa_kernel
	.text
.Lfunc_end0:
	.size	_Z25cumulative_barrier_kernelPjPii, .Lfunc_end0-_Z25cumulative_barrier_kernelPjPii
                                        ; -- End function
	.set _Z25cumulative_barrier_kernelPjPii.num_vgpr, 2
	.set _Z25cumulative_barrier_kernelPjPii.num_agpr, 0
	.set _Z25cumulative_barrier_kernelPjPii.numbered_sgpr, 12
	.set _Z25cumulative_barrier_kernelPjPii.num_named_barrier, 0
	.set _Z25cumulative_barrier_kernelPjPii.private_seg_size, 0
	.set _Z25cumulative_barrier_kernelPjPii.uses_vcc, 1
	.set _Z25cumulative_barrier_kernelPjPii.uses_flat_scratch, 0
	.set _Z25cumulative_barrier_kernelPjPii.has_dyn_sized_stack, 0
	.set _Z25cumulative_barrier_kernelPjPii.has_recursion, 0
	.set _Z25cumulative_barrier_kernelPjPii.has_indirect_call, 0
	.section	.AMDGPU.csdata,"",@progbits
; Kernel info:
; codeLenInByte = 220
; TotalNumSgprs: 14
; NumVgprs: 2
; ScratchSize: 0
; MemoryBound: 0
; FloatMode: 240
; IeeeMode: 1
; LDSByteSize: 0 bytes/workgroup (compile time only)
; SGPRBlocks: 0
; VGPRBlocks: 0
; NumSGPRsForWavesPerEU: 14
; NumVGPRsForWavesPerEU: 2
; Occupancy: 16
; WaveLimiterHint : 0
; COMPUTE_PGM_RSRC2:SCRATCH_EN: 0
; COMPUTE_PGM_RSRC2:USER_SGPR: 6
; COMPUTE_PGM_RSRC2:TRAP_HANDLER: 0
; COMPUTE_PGM_RSRC2:TGID_X_EN: 1
; COMPUTE_PGM_RSRC2:TGID_Y_EN: 0
; COMPUTE_PGM_RSRC2:TGID_Z_EN: 0
; COMPUTE_PGM_RSRC2:TIDIG_COMP_CNT: 0
	.text
	.protected	_Z21streamk_reduce_kernelPKfPfS1_Pji ; -- Begin function _Z21streamk_reduce_kernelPKfPfS1_Pji
	.globl	_Z21streamk_reduce_kernelPKfPfS1_Pji
	.p2align	8
	.type	_Z21streamk_reduce_kernelPKfPfS1_Pji,@function
_Z21streamk_reduce_kernelPKfPfS1_Pji:   ; @_Z21streamk_reduce_kernelPKfPfS1_Pji
; %bb.0:
	s_clause 0x2
	s_load_dword s7, s[4:5], 0x20
	s_load_dwordx2 s[8:9], s[4:5], 0x8
	s_load_dwordx2 s[2:3], s[4:5], 0x18
	v_cmp_eq_u32_e64 s0, 0, v0
	s_mov_b32 s1, -1
	s_waitcnt lgkmcnt(0)
	s_cmp_ge_i32 s6, s7
	s_cbranch_scc0 .LBB1_27
; %bb.1:
	s_load_dwordx2 s[10:11], s[4:5], 0x10
	s_and_saveexec_b32 s1, s0
	s_cbranch_execz .LBB1_4
; %bb.2:
	v_mov_b32_e32 v1, 0
.LBB1_3:                                ; =>This Inner Loop Header: Depth=1
	global_load_dword v2, v1, s[2:3] glc dlc
	s_waitcnt vmcnt(0)
	v_cmp_ne_u32_e32 vcc_lo, s7, v2
	s_cbranch_vccnz .LBB1_3
.LBB1_4:
	s_or_b32 exec_lo, exec_lo, s1
	v_mov_b32_e32 v3, 0
	s_mov_b32 s12, exec_lo
	s_barrier
	v_cmpx_gt_i32_e64 s7, v0
	s_cbranch_execz .LBB1_8
; %bb.5:
	v_lshlrev_b32_e32 v1, 2, v0
	v_mov_b32_e32 v3, 0
	v_mov_b32_e32 v4, v0
	s_mov_b32 s13, 0
	v_add_co_u32 v1, s1, s8, v1
	v_add_co_ci_u32_e64 v2, null, s9, 0, s1
.LBB1_6:                                ; =>This Inner Loop Header: Depth=1
	global_load_dword v5, v[1:2], off
	v_add_nc_u32_e32 v4, 0x100, v4
	v_add_co_u32 v1, vcc_lo, 0x400, v1
	v_add_co_ci_u32_e64 v2, null, 0, v2, vcc_lo
	v_cmp_le_i32_e64 s1, s7, v4
	s_or_b32 s13, s1, s13
	s_waitcnt vmcnt(0)
	v_add_f32_e32 v3, v3, v5
	s_andn2_b32 exec_lo, exec_lo, s13
	s_cbranch_execnz .LBB1_6
; %bb.7:
	s_or_b32 exec_lo, exec_lo, s13
.LBB1_8:
	s_or_b32 exec_lo, exec_lo, s12
	v_lshlrev_b32_e32 v2, 2, v0
	s_mov_b32 s1, exec_lo
	v_add_nc_u32_e32 v1, 0x400, v2
	ds_write_b32 v2, v3 offset:1024
	s_barrier
	v_cmpx_gt_u32_e32 0x80, v0
	s_cbranch_execz .LBB1_10
; %bb.9:
	ds_read2st64_b32 v[2:3], v1 offset1:2
	s_waitcnt lgkmcnt(0)
	v_add_f32_e32 v2, v3, v2
	ds_write_b32 v1, v2
.LBB1_10:
	s_or_b32 exec_lo, exec_lo, s1
	s_mov_b32 s1, exec_lo
	s_barrier
	v_cmpx_gt_u32_e32 64, v0
	s_cbranch_execz .LBB1_12
; %bb.11:
	ds_read2st64_b32 v[2:3], v1 offset1:1
	s_waitcnt lgkmcnt(0)
	v_add_f32_e32 v2, v3, v2
	ds_write_b32 v1, v2
.LBB1_12:
	s_or_b32 exec_lo, exec_lo, s1
	s_mov_b32 s1, exec_lo
	s_barrier
	v_cmpx_gt_u32_e32 32, v0
	s_cbranch_execz .LBB1_14
; %bb.13:
	ds_read2_b32 v[2:3], v1 offset1:32
	s_waitcnt lgkmcnt(0)
	v_add_f32_e32 v2, v3, v2
	ds_write_b32 v1, v2
.LBB1_14:
	s_or_b32 exec_lo, exec_lo, s1
	s_mov_b32 s1, exec_lo
	s_barrier
	v_cmpx_gt_u32_e32 16, v0
	s_cbranch_execz .LBB1_16
; %bb.15:
	ds_read2_b32 v[2:3], v1 offset1:16
	s_waitcnt lgkmcnt(0)
	v_add_f32_e32 v2, v3, v2
	ds_write_b32 v1, v2
.LBB1_16:
	s_or_b32 exec_lo, exec_lo, s1
	s_mov_b32 s1, exec_lo
	s_barrier
	v_cmpx_gt_u32_e32 8, v0
	s_cbranch_execz .LBB1_18
; %bb.17:
	ds_read2_b32 v[2:3], v1 offset1:8
	s_waitcnt lgkmcnt(0)
	v_add_f32_e32 v2, v3, v2
	ds_write_b32 v1, v2
.LBB1_18:
	s_or_b32 exec_lo, exec_lo, s1
	s_mov_b32 s1, exec_lo
	s_barrier
	v_cmpx_gt_u32_e32 4, v0
	s_cbranch_execz .LBB1_20
; %bb.19:
	ds_read2_b32 v[2:3], v1 offset1:4
	s_waitcnt lgkmcnt(0)
	v_add_f32_e32 v2, v3, v2
	ds_write_b32 v1, v2
.LBB1_20:
	s_or_b32 exec_lo, exec_lo, s1
	s_mov_b32 s1, exec_lo
	s_barrier
	v_cmpx_gt_u32_e32 2, v0
	s_cbranch_execz .LBB1_22
; %bb.21:
	ds_read2_b32 v[2:3], v1 offset1:2
	s_waitcnt lgkmcnt(0)
	v_add_f32_e32 v2, v3, v2
	ds_write_b32 v1, v2
.LBB1_22:
	s_or_b32 exec_lo, exec_lo, s1
	s_barrier
	s_and_saveexec_b32 s1, s0
	s_cbranch_execz .LBB1_24
; %bb.23:
	ds_read2_b32 v[2:3], v1 offset1:1
	s_waitcnt lgkmcnt(0)
	v_add_f32_e32 v2, v3, v2
	ds_write_b32 v1, v2
.LBB1_24:
	s_or_b32 exec_lo, exec_lo, s1
	s_barrier
	s_and_saveexec_b32 s1, s0
	s_cbranch_execz .LBB1_26
; %bb.25:
	v_mov_b32_e32 v1, 0
	ds_read_b32 v2, v1 offset:1024
	s_waitcnt lgkmcnt(0)
	global_store_dword v1, v2, s[10:11]
.LBB1_26:
	s_or_b32 exec_lo, exec_lo, s1
	s_mov_b32 s1, 0
.LBB1_27:
	s_and_b32 vcc_lo, exec_lo, s1
	s_cbranch_vccz .LBB1_49
; %bb.28:
	s_load_dwordx2 s[0:1], s[4:5], 0x0
	s_lshl_b32 s4, s6, 8
	v_lshlrev_b32_e32 v1, 2, v0
	s_ashr_i32 s5, s4, 31
	s_lshl_b64 s[4:5], s[4:5], 2
	s_waitcnt lgkmcnt(0)
	s_add_u32 s0, s0, s4
	s_addc_u32 s1, s1, s5
	global_load_dword v2, v1, s[0:1]
	s_mov_b32 s0, exec_lo
	s_waitcnt vmcnt(0)
	ds_write_b32 v1, v2
	s_barrier
	v_cmpx_gt_u32_e32 0x80, v0
	s_cbranch_execz .LBB1_30
; %bb.29:
	ds_read2st64_b32 v[2:3], v1 offset1:2
	s_waitcnt lgkmcnt(0)
	v_add_f32_e32 v2, v3, v2
	ds_write_b32 v1, v2
.LBB1_30:
	s_or_b32 exec_lo, exec_lo, s0
	s_mov_b32 s0, exec_lo
	s_barrier
	v_cmpx_gt_u32_e32 64, v0
	s_cbranch_execz .LBB1_32
; %bb.31:
	ds_read2st64_b32 v[2:3], v1 offset1:1
	s_waitcnt lgkmcnt(0)
	v_add_f32_e32 v2, v3, v2
	ds_write_b32 v1, v2
.LBB1_32:
	s_or_b32 exec_lo, exec_lo, s0
	s_mov_b32 s0, exec_lo
	s_barrier
	v_cmpx_gt_u32_e32 32, v0
	s_cbranch_execz .LBB1_34
; %bb.33:
	ds_read2_b32 v[2:3], v1 offset1:32
	s_waitcnt lgkmcnt(0)
	v_add_f32_e32 v2, v3, v2
	ds_write_b32 v1, v2
.LBB1_34:
	s_or_b32 exec_lo, exec_lo, s0
	s_mov_b32 s0, exec_lo
	s_barrier
	v_cmpx_gt_u32_e32 16, v0
	s_cbranch_execz .LBB1_36
; %bb.35:
	ds_read2_b32 v[2:3], v1 offset1:16
	s_waitcnt lgkmcnt(0)
	v_add_f32_e32 v2, v3, v2
	ds_write_b32 v1, v2
.LBB1_36:
	;; [unrolled: 11-line block ×5, first 2 shown]
	s_or_b32 exec_lo, exec_lo, s0
	v_cmp_eq_u32_e32 vcc_lo, 0, v0
	s_barrier
	s_and_saveexec_b32 s0, vcc_lo
	s_cbranch_execz .LBB1_44
; %bb.43:
	ds_read2_b32 v[2:3], v1 offset1:1
	s_waitcnt lgkmcnt(0)
	v_add_f32_e32 v0, v3, v2
	ds_write_b32 v1, v0
.LBB1_44:
	s_or_b32 exec_lo, exec_lo, s0
	s_barrier
	s_and_saveexec_b32 s0, vcc_lo
	s_cbranch_execz .LBB1_46
; %bb.45:
	v_mov_b32_e32 v0, 0
	s_ashr_i32 s7, s6, 31
	s_lshl_b64 s[4:5], s[6:7], 2
	s_add_u32 s4, s8, s4
	ds_read_b32 v1, v0
	s_addc_u32 s5, s9, s5
	s_waitcnt lgkmcnt(0)
	global_store_dword v0, v1, s[4:5]
.LBB1_46:
	s_or_b32 exec_lo, exec_lo, s0
	s_waitcnt lgkmcnt(0)
	s_waitcnt_vscnt null, 0x0
	s_barrier
	s_and_saveexec_b32 s0, vcc_lo
	s_cbranch_execz .LBB1_49
; %bb.47:
	s_mov_b32 s0, exec_lo
	v_mbcnt_lo_u32_b32 v0, s0, 0
	v_cmp_eq_u32_e32 vcc_lo, 0, v0
	s_and_b32 s1, exec_lo, vcc_lo
	s_mov_b32 exec_lo, s1
	s_cbranch_execz .LBB1_49
; %bb.48:
	s_bcnt1_i32_b32 s0, s0
	v_mov_b32_e32 v0, 0
	v_mov_b32_e32 v1, s0
	global_atomic_add v0, v1, s[2:3]
.LBB1_49:
	s_endpgm
	.section	.rodata,"a",@progbits
	.p2align	6, 0x0
	.amdhsa_kernel _Z21streamk_reduce_kernelPKfPfS1_Pji
		.amdhsa_group_segment_fixed_size 2048
		.amdhsa_private_segment_fixed_size 0
		.amdhsa_kernarg_size 36
		.amdhsa_user_sgpr_count 6
		.amdhsa_user_sgpr_private_segment_buffer 1
		.amdhsa_user_sgpr_dispatch_ptr 0
		.amdhsa_user_sgpr_queue_ptr 0
		.amdhsa_user_sgpr_kernarg_segment_ptr 1
		.amdhsa_user_sgpr_dispatch_id 0
		.amdhsa_user_sgpr_flat_scratch_init 0
		.amdhsa_user_sgpr_private_segment_size 0
		.amdhsa_wavefront_size32 1
		.amdhsa_uses_dynamic_stack 0
		.amdhsa_system_sgpr_private_segment_wavefront_offset 0
		.amdhsa_system_sgpr_workgroup_id_x 1
		.amdhsa_system_sgpr_workgroup_id_y 0
		.amdhsa_system_sgpr_workgroup_id_z 0
		.amdhsa_system_sgpr_workgroup_info 0
		.amdhsa_system_vgpr_workitem_id 0
		.amdhsa_next_free_vgpr 6
		.amdhsa_next_free_sgpr 14
		.amdhsa_reserve_vcc 1
		.amdhsa_reserve_flat_scratch 0
		.amdhsa_float_round_mode_32 0
		.amdhsa_float_round_mode_16_64 0
		.amdhsa_float_denorm_mode_32 3
		.amdhsa_float_denorm_mode_16_64 3
		.amdhsa_dx10_clamp 1
		.amdhsa_ieee_mode 1
		.amdhsa_fp16_overflow 0
		.amdhsa_workgroup_processor_mode 1
		.amdhsa_memory_ordered 1
		.amdhsa_forward_progress 1
		.amdhsa_shared_vgpr_count 0
		.amdhsa_exception_fp_ieee_invalid_op 0
		.amdhsa_exception_fp_denorm_src 0
		.amdhsa_exception_fp_ieee_div_zero 0
		.amdhsa_exception_fp_ieee_overflow 0
		.amdhsa_exception_fp_ieee_underflow 0
		.amdhsa_exception_fp_ieee_inexact 0
		.amdhsa_exception_int_div_zero 0
	.end_amdhsa_kernel
	.text
.Lfunc_end1:
	.size	_Z21streamk_reduce_kernelPKfPfS1_Pji, .Lfunc_end1-_Z21streamk_reduce_kernelPKfPfS1_Pji
                                        ; -- End function
	.set _Z21streamk_reduce_kernelPKfPfS1_Pji.num_vgpr, 6
	.set _Z21streamk_reduce_kernelPKfPfS1_Pji.num_agpr, 0
	.set _Z21streamk_reduce_kernelPKfPfS1_Pji.numbered_sgpr, 14
	.set _Z21streamk_reduce_kernelPKfPfS1_Pji.num_named_barrier, 0
	.set _Z21streamk_reduce_kernelPKfPfS1_Pji.private_seg_size, 0
	.set _Z21streamk_reduce_kernelPKfPfS1_Pji.uses_vcc, 1
	.set _Z21streamk_reduce_kernelPKfPfS1_Pji.uses_flat_scratch, 0
	.set _Z21streamk_reduce_kernelPKfPfS1_Pji.has_dyn_sized_stack, 0
	.set _Z21streamk_reduce_kernelPKfPfS1_Pji.has_recursion, 0
	.set _Z21streamk_reduce_kernelPKfPfS1_Pji.has_indirect_call, 0
	.section	.AMDGPU.csdata,"",@progbits
; Kernel info:
; codeLenInByte = 1188
; TotalNumSgprs: 16
; NumVgprs: 6
; ScratchSize: 0
; MemoryBound: 0
; FloatMode: 240
; IeeeMode: 1
; LDSByteSize: 2048 bytes/workgroup (compile time only)
; SGPRBlocks: 0
; VGPRBlocks: 0
; NumSGPRsForWavesPerEU: 16
; NumVGPRsForWavesPerEU: 6
; Occupancy: 16
; WaveLimiterHint : 0
; COMPUTE_PGM_RSRC2:SCRATCH_EN: 0
; COMPUTE_PGM_RSRC2:USER_SGPR: 6
; COMPUTE_PGM_RSRC2:TRAP_HANDLER: 0
; COMPUTE_PGM_RSRC2:TGID_X_EN: 1
; COMPUTE_PGM_RSRC2:TGID_Y_EN: 0
; COMPUTE_PGM_RSRC2:TGID_Z_EN: 0
; COMPUTE_PGM_RSRC2:TIDIG_COMP_CNT: 0
	.text
	.p2alignl 6, 3214868480
	.fill 48, 4, 3214868480
	.section	.AMDGPU.gpr_maximums,"",@progbits
	.set amdgpu.max_num_vgpr, 0
	.set amdgpu.max_num_agpr, 0
	.set amdgpu.max_num_sgpr, 0
	.text
	.type	__hip_cuid_996eee5be5069f58,@object ; @__hip_cuid_996eee5be5069f58
	.section	.bss,"aw",@nobits
	.globl	__hip_cuid_996eee5be5069f58
__hip_cuid_996eee5be5069f58:
	.byte	0                               ; 0x0
	.size	__hip_cuid_996eee5be5069f58, 1

	.ident	"AMD clang version 22.0.0git (https://github.com/RadeonOpenCompute/llvm-project roc-7.2.4 26084 f58b06dce1f9c15707c5f808fd002e18c2accf7e)"
	.section	".note.GNU-stack","",@progbits
	.addrsig
	.addrsig_sym __hip_cuid_996eee5be5069f58
	.amdgpu_metadata
---
amdhsa.kernels:
  - .args:
      - .address_space:  global
        .offset:         0
        .size:           8
        .value_kind:     global_buffer
      - .address_space:  global
        .offset:         8
        .size:           8
        .value_kind:     global_buffer
      - .offset:         16
        .size:           4
        .value_kind:     by_value
    .group_segment_fixed_size: 0
    .kernarg_segment_align: 8
    .kernarg_segment_size: 20
    .language:       OpenCL C
    .language_version:
      - 2
      - 0
    .max_flat_workgroup_size: 1024
    .name:           _Z25cumulative_barrier_kernelPjPii
    .private_segment_fixed_size: 0
    .sgpr_count:     14
    .sgpr_spill_count: 0
    .symbol:         _Z25cumulative_barrier_kernelPjPii.kd
    .uniform_work_group_size: 1
    .uses_dynamic_stack: false
    .vgpr_count:     2
    .vgpr_spill_count: 0
    .wavefront_size: 32
    .workgroup_processor_mode: 1
  - .args:
      - .actual_access:  read_only
        .address_space:  global
        .offset:         0
        .size:           8
        .value_kind:     global_buffer
      - .address_space:  global
        .offset:         8
        .size:           8
        .value_kind:     global_buffer
      - .actual_access:  write_only
        .address_space:  global
        .offset:         16
        .size:           8
        .value_kind:     global_buffer
      - .address_space:  global
        .offset:         24
        .size:           8
        .value_kind:     global_buffer
      - .offset:         32
        .size:           4
        .value_kind:     by_value
    .group_segment_fixed_size: 2048
    .kernarg_segment_align: 8
    .kernarg_segment_size: 36
    .language:       OpenCL C
    .language_version:
      - 2
      - 0
    .max_flat_workgroup_size: 1024
    .name:           _Z21streamk_reduce_kernelPKfPfS1_Pji
    .private_segment_fixed_size: 0
    .sgpr_count:     16
    .sgpr_spill_count: 0
    .symbol:         _Z21streamk_reduce_kernelPKfPfS1_Pji.kd
    .uniform_work_group_size: 1
    .uses_dynamic_stack: false
    .vgpr_count:     6
    .vgpr_spill_count: 0
    .wavefront_size: 32
    .workgroup_processor_mode: 1
amdhsa.target:   amdgcn-amd-amdhsa--gfx1030
amdhsa.version:
  - 1
  - 2
...

	.end_amdgpu_metadata
